;; amdgpu-corpus repo=zjin-lcf/HeCBench kind=compiled arch=gfx950 opt=O3
	.amdgcn_target "amdgcn-amd-amdhsa--gfx950"
	.amdhsa_code_object_version 6
	.section	.text._Z21ref_fp32_cvt_e4m3fnuzIhfEvPT_PKT0_i,"axG",@progbits,_Z21ref_fp32_cvt_e4m3fnuzIhfEvPT_PKT0_i,comdat
	.protected	_Z21ref_fp32_cvt_e4m3fnuzIhfEvPT_PKT0_i ; -- Begin function _Z21ref_fp32_cvt_e4m3fnuzIhfEvPT_PKT0_i
	.globl	_Z21ref_fp32_cvt_e4m3fnuzIhfEvPT_PKT0_i
	.p2align	8
	.type	_Z21ref_fp32_cvt_e4m3fnuzIhfEvPT_PKT0_i,@function
_Z21ref_fp32_cvt_e4m3fnuzIhfEvPT_PKT0_i: ; @_Z21ref_fp32_cvt_e4m3fnuzIhfEvPT_PKT0_i
; %bb.0:
	s_load_dword s3, s[0:1], 0x24
	s_load_dword s4, s[0:1], 0x10
	s_waitcnt lgkmcnt(0)
	s_and_b32 s3, s3, 0xffff
	s_mul_i32 s2, s2, s3
	v_add_u32_e32 v0, s2, v0
	v_cmp_gt_i32_e32 vcc, s4, v0
	s_and_saveexec_b64 s[2:3], vcc
	s_cbranch_execz .LBB0_8
; %bb.1:
	s_load_dwordx4 s[0:3], s[0:1], 0x0
	v_ashrrev_i32_e32 v1, 31, v0
	v_mov_b32_e32 v4, 0x80
	s_waitcnt lgkmcnt(0)
	v_lshl_add_u64 v[2:3], v[0:1], 2, s[2:3]
	global_load_dword v2, v[2:3], off
	s_mov_b32 s2, 0x43800000
	s_waitcnt vmcnt(0)
	v_and_b32_e32 v3, 0x7fffffff, v2
	v_cmp_gt_u32_e32 vcc, s2, v3
	s_and_saveexec_b64 s[2:3], vcc
	s_cbranch_execz .LBB0_7
; %bb.2:
	s_mov_b32 s4, 0x3bffffff
	v_cmp_lt_u32_e32 vcc, s4, v3
	s_mov_b64 s[4:5], 0
                                        ; implicit-def: $vgpr3
	s_and_saveexec_b64 s[6:7], vcc
	s_xor_b64 s[6:7], exec, s[6:7]
	s_cbranch_execnz .LBB0_9
; %bb.3:
	s_andn2_saveexec_b64 s[6:7], s[6:7]
	s_cbranch_execnz .LBB0_10
.LBB0_4:
	s_or_b64 exec, exec, s[6:7]
	v_mov_b32_e32 v4, 0
	s_and_saveexec_b64 s[6:7], s[4:5]
.LBB0_5:
	v_lshrrev_b32_e32 v2, 24, v2
	s_movk_i32 s4, 0x80
	v_and_or_b32 v4, v2, s4, v3
.LBB0_6:
	s_or_b64 exec, exec, s[6:7]
.LBB0_7:
	s_or_b64 exec, exec, s[2:3]
	v_lshl_add_u64 v[0:1], s[0:1], 0, v[0:1]
	global_store_byte v[0:1], v4, off
.LBB0_8:
	s_endpgm
.LBB0_9:
	v_bfe_u32 v3, v2, 20, 1
	s_mov_b32 s8, 0x487ffff
	v_add3_u32 v3, v2, v3, s8
	s_mov_b64 s[4:5], exec
	v_lshrrev_b32_e32 v3, 20, v3
	s_andn2_saveexec_b64 s[6:7], s[6:7]
	s_cbranch_execz .LBB0_4
.LBB0_10:
	s_mov_b32 s8, 0x46000000
	v_add_f32_e64 v3, |v2|, s8
	v_and_b32_e32 v3, 0xff, v3
	v_cmp_ne_u32_e32 vcc, 0, v3
	s_andn2_b64 s[4:5], s[4:5], exec
	s_and_b64 s[8:9], vcc, exec
	s_or_b64 s[4:5], s[4:5], s[8:9]
	s_or_b64 exec, exec, s[6:7]
	v_mov_b32_e32 v4, 0
	s_and_saveexec_b64 s[6:7], s[4:5]
	s_cbranch_execnz .LBB0_5
	s_branch .LBB0_6
	.section	.rodata,"a",@progbits
	.p2align	6, 0x0
	.amdhsa_kernel _Z21ref_fp32_cvt_e4m3fnuzIhfEvPT_PKT0_i
		.amdhsa_group_segment_fixed_size 0
		.amdhsa_private_segment_fixed_size 0
		.amdhsa_kernarg_size 280
		.amdhsa_user_sgpr_count 2
		.amdhsa_user_sgpr_dispatch_ptr 0
		.amdhsa_user_sgpr_queue_ptr 0
		.amdhsa_user_sgpr_kernarg_segment_ptr 1
		.amdhsa_user_sgpr_dispatch_id 0
		.amdhsa_user_sgpr_kernarg_preload_length 0
		.amdhsa_user_sgpr_kernarg_preload_offset 0
		.amdhsa_user_sgpr_private_segment_size 0
		.amdhsa_uses_dynamic_stack 0
		.amdhsa_enable_private_segment 0
		.amdhsa_system_sgpr_workgroup_id_x 1
		.amdhsa_system_sgpr_workgroup_id_y 0
		.amdhsa_system_sgpr_workgroup_id_z 0
		.amdhsa_system_sgpr_workgroup_info 0
		.amdhsa_system_vgpr_workitem_id 0
		.amdhsa_next_free_vgpr 5
		.amdhsa_next_free_sgpr 10
		.amdhsa_accum_offset 8
		.amdhsa_reserve_vcc 1
		.amdhsa_float_round_mode_32 0
		.amdhsa_float_round_mode_16_64 0
		.amdhsa_float_denorm_mode_32 3
		.amdhsa_float_denorm_mode_16_64 3
		.amdhsa_dx10_clamp 1
		.amdhsa_ieee_mode 1
		.amdhsa_fp16_overflow 0
		.amdhsa_tg_split 0
		.amdhsa_exception_fp_ieee_invalid_op 0
		.amdhsa_exception_fp_denorm_src 0
		.amdhsa_exception_fp_ieee_div_zero 0
		.amdhsa_exception_fp_ieee_overflow 0
		.amdhsa_exception_fp_ieee_underflow 0
		.amdhsa_exception_fp_ieee_inexact 0
		.amdhsa_exception_int_div_zero 0
	.end_amdhsa_kernel
	.section	.text._Z21ref_fp32_cvt_e4m3fnuzIhfEvPT_PKT0_i,"axG",@progbits,_Z21ref_fp32_cvt_e4m3fnuzIhfEvPT_PKT0_i,comdat
.Lfunc_end0:
	.size	_Z21ref_fp32_cvt_e4m3fnuzIhfEvPT_PKT0_i, .Lfunc_end0-_Z21ref_fp32_cvt_e4m3fnuzIhfEvPT_PKT0_i
                                        ; -- End function
	.set _Z21ref_fp32_cvt_e4m3fnuzIhfEvPT_PKT0_i.num_vgpr, 5
	.set _Z21ref_fp32_cvt_e4m3fnuzIhfEvPT_PKT0_i.num_agpr, 0
	.set _Z21ref_fp32_cvt_e4m3fnuzIhfEvPT_PKT0_i.numbered_sgpr, 10
	.set _Z21ref_fp32_cvt_e4m3fnuzIhfEvPT_PKT0_i.num_named_barrier, 0
	.set _Z21ref_fp32_cvt_e4m3fnuzIhfEvPT_PKT0_i.private_seg_size, 0
	.set _Z21ref_fp32_cvt_e4m3fnuzIhfEvPT_PKT0_i.uses_vcc, 1
	.set _Z21ref_fp32_cvt_e4m3fnuzIhfEvPT_PKT0_i.uses_flat_scratch, 0
	.set _Z21ref_fp32_cvt_e4m3fnuzIhfEvPT_PKT0_i.has_dyn_sized_stack, 0
	.set _Z21ref_fp32_cvt_e4m3fnuzIhfEvPT_PKT0_i.has_recursion, 0
	.set _Z21ref_fp32_cvt_e4m3fnuzIhfEvPT_PKT0_i.has_indirect_call, 0
	.section	.AMDGPU.csdata,"",@progbits
; Kernel info:
; codeLenInByte = 312
; TotalNumSgprs: 16
; NumVgprs: 5
; NumAgprs: 0
; TotalNumVgprs: 5
; ScratchSize: 0
; MemoryBound: 0
; FloatMode: 240
; IeeeMode: 1
; LDSByteSize: 0 bytes/workgroup (compile time only)
; SGPRBlocks: 1
; VGPRBlocks: 0
; NumSGPRsForWavesPerEU: 16
; NumVGPRsForWavesPerEU: 5
; AccumOffset: 8
; Occupancy: 8
; WaveLimiterHint : 0
; COMPUTE_PGM_RSRC2:SCRATCH_EN: 0
; COMPUTE_PGM_RSRC2:USER_SGPR: 2
; COMPUTE_PGM_RSRC2:TRAP_HANDLER: 0
; COMPUTE_PGM_RSRC2:TGID_X_EN: 1
; COMPUTE_PGM_RSRC2:TGID_Y_EN: 0
; COMPUTE_PGM_RSRC2:TGID_Z_EN: 0
; COMPUTE_PGM_RSRC2:TIDIG_COMP_CNT: 0
; COMPUTE_PGM_RSRC3_GFX90A:ACCUM_OFFSET: 1
; COMPUTE_PGM_RSRC3_GFX90A:TG_SPLIT: 0
	.section	.text._Z13fp32_cvt_e4m3IhfEvPT_PKT0_i,"axG",@progbits,_Z13fp32_cvt_e4m3IhfEvPT_PKT0_i,comdat
	.protected	_Z13fp32_cvt_e4m3IhfEvPT_PKT0_i ; -- Begin function _Z13fp32_cvt_e4m3IhfEvPT_PKT0_i
	.globl	_Z13fp32_cvt_e4m3IhfEvPT_PKT0_i
	.p2align	8
	.type	_Z13fp32_cvt_e4m3IhfEvPT_PKT0_i,@function
_Z13fp32_cvt_e4m3IhfEvPT_PKT0_i:        ; @_Z13fp32_cvt_e4m3IhfEvPT_PKT0_i
; %bb.0:
	s_load_dword s3, s[0:1], 0x24
	s_load_dword s4, s[0:1], 0x10
	s_waitcnt lgkmcnt(0)
	s_and_b32 s0, s3, 0xffff
	s_mul_i32 s2, s2, s0
	v_add_u32_e32 v0, s2, v0
	v_cmp_gt_i32_e32 vcc, s4, v0
	s_and_saveexec_b64 s[0:1], vcc
	s_cbranch_execnz .LBB1_2
; %bb.1:
	s_endpgm
.LBB1_2:
	s_trap 2
	; divergent unreachable
	s_endpgm
	.section	.rodata,"a",@progbits
	.p2align	6, 0x0
	.amdhsa_kernel _Z13fp32_cvt_e4m3IhfEvPT_PKT0_i
		.amdhsa_group_segment_fixed_size 0
		.amdhsa_private_segment_fixed_size 0
		.amdhsa_kernarg_size 280
		.amdhsa_user_sgpr_count 2
		.amdhsa_user_sgpr_dispatch_ptr 0
		.amdhsa_user_sgpr_queue_ptr 0
		.amdhsa_user_sgpr_kernarg_segment_ptr 1
		.amdhsa_user_sgpr_dispatch_id 0
		.amdhsa_user_sgpr_kernarg_preload_length 0
		.amdhsa_user_sgpr_kernarg_preload_offset 0
		.amdhsa_user_sgpr_private_segment_size 0
		.amdhsa_uses_dynamic_stack 0
		.amdhsa_enable_private_segment 0
		.amdhsa_system_sgpr_workgroup_id_x 1
		.amdhsa_system_sgpr_workgroup_id_y 0
		.amdhsa_system_sgpr_workgroup_id_z 0
		.amdhsa_system_sgpr_workgroup_info 0
		.amdhsa_system_vgpr_workitem_id 0
		.amdhsa_next_free_vgpr 1
		.amdhsa_next_free_sgpr 5
		.amdhsa_accum_offset 4
		.amdhsa_reserve_vcc 1
		.amdhsa_float_round_mode_32 0
		.amdhsa_float_round_mode_16_64 0
		.amdhsa_float_denorm_mode_32 3
		.amdhsa_float_denorm_mode_16_64 3
		.amdhsa_dx10_clamp 1
		.amdhsa_ieee_mode 1
		.amdhsa_fp16_overflow 0
		.amdhsa_tg_split 0
		.amdhsa_exception_fp_ieee_invalid_op 0
		.amdhsa_exception_fp_denorm_src 0
		.amdhsa_exception_fp_ieee_div_zero 0
		.amdhsa_exception_fp_ieee_overflow 0
		.amdhsa_exception_fp_ieee_underflow 0
		.amdhsa_exception_fp_ieee_inexact 0
		.amdhsa_exception_int_div_zero 0
	.end_amdhsa_kernel
	.section	.text._Z13fp32_cvt_e4m3IhfEvPT_PKT0_i,"axG",@progbits,_Z13fp32_cvt_e4m3IhfEvPT_PKT0_i,comdat
.Lfunc_end1:
	.size	_Z13fp32_cvt_e4m3IhfEvPT_PKT0_i, .Lfunc_end1-_Z13fp32_cvt_e4m3IhfEvPT_PKT0_i
                                        ; -- End function
	.set _Z13fp32_cvt_e4m3IhfEvPT_PKT0_i.num_vgpr, 1
	.set _Z13fp32_cvt_e4m3IhfEvPT_PKT0_i.num_agpr, 0
	.set _Z13fp32_cvt_e4m3IhfEvPT_PKT0_i.numbered_sgpr, 5
	.set _Z13fp32_cvt_e4m3IhfEvPT_PKT0_i.num_named_barrier, 0
	.set _Z13fp32_cvt_e4m3IhfEvPT_PKT0_i.private_seg_size, 0
	.set _Z13fp32_cvt_e4m3IhfEvPT_PKT0_i.uses_vcc, 1
	.set _Z13fp32_cvt_e4m3IhfEvPT_PKT0_i.uses_flat_scratch, 0
	.set _Z13fp32_cvt_e4m3IhfEvPT_PKT0_i.has_dyn_sized_stack, 0
	.set _Z13fp32_cvt_e4m3IhfEvPT_PKT0_i.has_recursion, 0
	.set _Z13fp32_cvt_e4m3IhfEvPT_PKT0_i.has_indirect_call, 0
	.section	.AMDGPU.csdata,"",@progbits
; Kernel info:
; codeLenInByte = 60
; TotalNumSgprs: 11
; NumVgprs: 1
; NumAgprs: 0
; TotalNumVgprs: 1
; ScratchSize: 0
; MemoryBound: 0
; FloatMode: 240
; IeeeMode: 1
; LDSByteSize: 0 bytes/workgroup (compile time only)
; SGPRBlocks: 1
; VGPRBlocks: 0
; NumSGPRsForWavesPerEU: 11
; NumVGPRsForWavesPerEU: 1
; AccumOffset: 4
; Occupancy: 8
; WaveLimiterHint : 0
; COMPUTE_PGM_RSRC2:SCRATCH_EN: 0
; COMPUTE_PGM_RSRC2:USER_SGPR: 2
; COMPUTE_PGM_RSRC2:TRAP_HANDLER: 0
; COMPUTE_PGM_RSRC2:TGID_X_EN: 1
; COMPUTE_PGM_RSRC2:TGID_Y_EN: 0
; COMPUTE_PGM_RSRC2:TGID_Z_EN: 0
; COMPUTE_PGM_RSRC2:TIDIG_COMP_CNT: 0
; COMPUTE_PGM_RSRC3_GFX90A:ACCUM_OFFSET: 0
; COMPUTE_PGM_RSRC3_GFX90A:TG_SPLIT: 0
	.section	.text._Z21ref_fp32_cvt_e5m2fnuzIhfEvPT_PKT0_i,"axG",@progbits,_Z21ref_fp32_cvt_e5m2fnuzIhfEvPT_PKT0_i,comdat
	.protected	_Z21ref_fp32_cvt_e5m2fnuzIhfEvPT_PKT0_i ; -- Begin function _Z21ref_fp32_cvt_e5m2fnuzIhfEvPT_PKT0_i
	.globl	_Z21ref_fp32_cvt_e5m2fnuzIhfEvPT_PKT0_i
	.p2align	8
	.type	_Z21ref_fp32_cvt_e5m2fnuzIhfEvPT_PKT0_i,@function
_Z21ref_fp32_cvt_e5m2fnuzIhfEvPT_PKT0_i: ; @_Z21ref_fp32_cvt_e5m2fnuzIhfEvPT_PKT0_i
; %bb.0:
	s_load_dword s3, s[0:1], 0x24
	s_load_dword s4, s[0:1], 0x10
	s_waitcnt lgkmcnt(0)
	s_and_b32 s3, s3, 0xffff
	s_mul_i32 s2, s2, s3
	v_add_u32_e32 v0, s2, v0
	v_cmp_gt_i32_e32 vcc, s4, v0
	s_and_saveexec_b64 s[2:3], vcc
	s_cbranch_execz .LBB2_8
; %bb.1:
	s_load_dwordx4 s[0:3], s[0:1], 0x0
	v_ashrrev_i32_e32 v1, 31, v0
	v_mov_b32_e32 v4, 0x80
	s_waitcnt lgkmcnt(0)
	v_lshl_add_u64 v[2:3], v[0:1], 2, s[2:3]
	global_load_dword v2, v[2:3], off
	s_mov_b32 s2, 0x47800000
	s_waitcnt vmcnt(0)
	v_and_b32_e32 v3, 0x7fffffff, v2
	v_cmp_gt_u32_e32 vcc, s2, v3
	s_and_saveexec_b64 s[2:3], vcc
	s_cbranch_execz .LBB2_7
; %bb.2:
	s_mov_b32 s4, 0x37ffffff
	v_cmp_lt_u32_e32 vcc, s4, v3
	s_mov_b64 s[4:5], 0
                                        ; implicit-def: $vgpr3
	s_and_saveexec_b64 s[6:7], vcc
	s_xor_b64 s[6:7], exec, s[6:7]
	s_cbranch_execnz .LBB2_9
; %bb.3:
	s_andn2_saveexec_b64 s[6:7], s[6:7]
	s_cbranch_execnz .LBB2_10
.LBB2_4:
	s_or_b64 exec, exec, s[6:7]
	v_mov_b32_e32 v4, 0
	s_and_saveexec_b64 s[6:7], s[4:5]
.LBB2_5:
	v_lshrrev_b32_e32 v2, 24, v2
	s_movk_i32 s4, 0x80
	v_and_or_b32 v4, v2, s4, v3
.LBB2_6:
	s_or_b64 exec, exec, s[6:7]
.LBB2_7:
	s_or_b64 exec, exec, s[2:3]
	v_lshl_add_u64 v[0:1], s[0:1], 0, v[0:1]
	global_store_byte v[0:1], v4, off
.LBB2_8:
	s_endpgm
.LBB2_9:
	v_bfe_u32 v3, v2, 21, 1
	s_mov_b32 s8, 0x88fffff
	v_add3_u32 v3, v2, v3, s8
	s_mov_b64 s[4:5], exec
	v_lshrrev_b32_e32 v3, 21, v3
	s_andn2_saveexec_b64 s[6:7], s[6:7]
	s_cbranch_execz .LBB2_4
.LBB2_10:
	s_mov_b32 s8, 0x42800000
	v_add_f32_e64 v3, |v2|, s8
	v_and_b32_e32 v3, 0xff, v3
	v_cmp_ne_u32_e32 vcc, 0, v3
	s_andn2_b64 s[4:5], s[4:5], exec
	s_and_b64 s[8:9], vcc, exec
	s_or_b64 s[4:5], s[4:5], s[8:9]
	s_or_b64 exec, exec, s[6:7]
	v_mov_b32_e32 v4, 0
	s_and_saveexec_b64 s[6:7], s[4:5]
	s_cbranch_execnz .LBB2_5
	s_branch .LBB2_6
	.section	.rodata,"a",@progbits
	.p2align	6, 0x0
	.amdhsa_kernel _Z21ref_fp32_cvt_e5m2fnuzIhfEvPT_PKT0_i
		.amdhsa_group_segment_fixed_size 0
		.amdhsa_private_segment_fixed_size 0
		.amdhsa_kernarg_size 280
		.amdhsa_user_sgpr_count 2
		.amdhsa_user_sgpr_dispatch_ptr 0
		.amdhsa_user_sgpr_queue_ptr 0
		.amdhsa_user_sgpr_kernarg_segment_ptr 1
		.amdhsa_user_sgpr_dispatch_id 0
		.amdhsa_user_sgpr_kernarg_preload_length 0
		.amdhsa_user_sgpr_kernarg_preload_offset 0
		.amdhsa_user_sgpr_private_segment_size 0
		.amdhsa_uses_dynamic_stack 0
		.amdhsa_enable_private_segment 0
		.amdhsa_system_sgpr_workgroup_id_x 1
		.amdhsa_system_sgpr_workgroup_id_y 0
		.amdhsa_system_sgpr_workgroup_id_z 0
		.amdhsa_system_sgpr_workgroup_info 0
		.amdhsa_system_vgpr_workitem_id 0
		.amdhsa_next_free_vgpr 5
		.amdhsa_next_free_sgpr 10
		.amdhsa_accum_offset 8
		.amdhsa_reserve_vcc 1
		.amdhsa_float_round_mode_32 0
		.amdhsa_float_round_mode_16_64 0
		.amdhsa_float_denorm_mode_32 3
		.amdhsa_float_denorm_mode_16_64 3
		.amdhsa_dx10_clamp 1
		.amdhsa_ieee_mode 1
		.amdhsa_fp16_overflow 0
		.amdhsa_tg_split 0
		.amdhsa_exception_fp_ieee_invalid_op 0
		.amdhsa_exception_fp_denorm_src 0
		.amdhsa_exception_fp_ieee_div_zero 0
		.amdhsa_exception_fp_ieee_overflow 0
		.amdhsa_exception_fp_ieee_underflow 0
		.amdhsa_exception_fp_ieee_inexact 0
		.amdhsa_exception_int_div_zero 0
	.end_amdhsa_kernel
	.section	.text._Z21ref_fp32_cvt_e5m2fnuzIhfEvPT_PKT0_i,"axG",@progbits,_Z21ref_fp32_cvt_e5m2fnuzIhfEvPT_PKT0_i,comdat
.Lfunc_end2:
	.size	_Z21ref_fp32_cvt_e5m2fnuzIhfEvPT_PKT0_i, .Lfunc_end2-_Z21ref_fp32_cvt_e5m2fnuzIhfEvPT_PKT0_i
                                        ; -- End function
	.set _Z21ref_fp32_cvt_e5m2fnuzIhfEvPT_PKT0_i.num_vgpr, 5
	.set _Z21ref_fp32_cvt_e5m2fnuzIhfEvPT_PKT0_i.num_agpr, 0
	.set _Z21ref_fp32_cvt_e5m2fnuzIhfEvPT_PKT0_i.numbered_sgpr, 10
	.set _Z21ref_fp32_cvt_e5m2fnuzIhfEvPT_PKT0_i.num_named_barrier, 0
	.set _Z21ref_fp32_cvt_e5m2fnuzIhfEvPT_PKT0_i.private_seg_size, 0
	.set _Z21ref_fp32_cvt_e5m2fnuzIhfEvPT_PKT0_i.uses_vcc, 1
	.set _Z21ref_fp32_cvt_e5m2fnuzIhfEvPT_PKT0_i.uses_flat_scratch, 0
	.set _Z21ref_fp32_cvt_e5m2fnuzIhfEvPT_PKT0_i.has_dyn_sized_stack, 0
	.set _Z21ref_fp32_cvt_e5m2fnuzIhfEvPT_PKT0_i.has_recursion, 0
	.set _Z21ref_fp32_cvt_e5m2fnuzIhfEvPT_PKT0_i.has_indirect_call, 0
	.section	.AMDGPU.csdata,"",@progbits
; Kernel info:
; codeLenInByte = 312
; TotalNumSgprs: 16
; NumVgprs: 5
; NumAgprs: 0
; TotalNumVgprs: 5
; ScratchSize: 0
; MemoryBound: 0
; FloatMode: 240
; IeeeMode: 1
; LDSByteSize: 0 bytes/workgroup (compile time only)
; SGPRBlocks: 1
; VGPRBlocks: 0
; NumSGPRsForWavesPerEU: 16
; NumVGPRsForWavesPerEU: 5
; AccumOffset: 8
; Occupancy: 8
; WaveLimiterHint : 0
; COMPUTE_PGM_RSRC2:SCRATCH_EN: 0
; COMPUTE_PGM_RSRC2:USER_SGPR: 2
; COMPUTE_PGM_RSRC2:TRAP_HANDLER: 0
; COMPUTE_PGM_RSRC2:TGID_X_EN: 1
; COMPUTE_PGM_RSRC2:TGID_Y_EN: 0
; COMPUTE_PGM_RSRC2:TGID_Z_EN: 0
; COMPUTE_PGM_RSRC2:TIDIG_COMP_CNT: 0
; COMPUTE_PGM_RSRC3_GFX90A:ACCUM_OFFSET: 1
; COMPUTE_PGM_RSRC3_GFX90A:TG_SPLIT: 0
	.section	.text._Z13fp32_cvt_e5m2IhfEvPT_PKT0_i,"axG",@progbits,_Z13fp32_cvt_e5m2IhfEvPT_PKT0_i,comdat
	.protected	_Z13fp32_cvt_e5m2IhfEvPT_PKT0_i ; -- Begin function _Z13fp32_cvt_e5m2IhfEvPT_PKT0_i
	.globl	_Z13fp32_cvt_e5m2IhfEvPT_PKT0_i
	.p2align	8
	.type	_Z13fp32_cvt_e5m2IhfEvPT_PKT0_i,@function
_Z13fp32_cvt_e5m2IhfEvPT_PKT0_i:        ; @_Z13fp32_cvt_e5m2IhfEvPT_PKT0_i
; %bb.0:
	s_load_dword s3, s[0:1], 0x24
	s_load_dword s4, s[0:1], 0x10
	s_waitcnt lgkmcnt(0)
	s_and_b32 s0, s3, 0xffff
	s_mul_i32 s2, s2, s0
	v_add_u32_e32 v0, s2, v0
	v_cmp_gt_i32_e32 vcc, s4, v0
	s_and_saveexec_b64 s[0:1], vcc
	s_cbranch_execnz .LBB3_2
; %bb.1:
	s_endpgm
.LBB3_2:
	s_trap 2
	; divergent unreachable
	s_endpgm
	.section	.rodata,"a",@progbits
	.p2align	6, 0x0
	.amdhsa_kernel _Z13fp32_cvt_e5m2IhfEvPT_PKT0_i
		.amdhsa_group_segment_fixed_size 0
		.amdhsa_private_segment_fixed_size 0
		.amdhsa_kernarg_size 280
		.amdhsa_user_sgpr_count 2
		.amdhsa_user_sgpr_dispatch_ptr 0
		.amdhsa_user_sgpr_queue_ptr 0
		.amdhsa_user_sgpr_kernarg_segment_ptr 1
		.amdhsa_user_sgpr_dispatch_id 0
		.amdhsa_user_sgpr_kernarg_preload_length 0
		.amdhsa_user_sgpr_kernarg_preload_offset 0
		.amdhsa_user_sgpr_private_segment_size 0
		.amdhsa_uses_dynamic_stack 0
		.amdhsa_enable_private_segment 0
		.amdhsa_system_sgpr_workgroup_id_x 1
		.amdhsa_system_sgpr_workgroup_id_y 0
		.amdhsa_system_sgpr_workgroup_id_z 0
		.amdhsa_system_sgpr_workgroup_info 0
		.amdhsa_system_vgpr_workitem_id 0
		.amdhsa_next_free_vgpr 1
		.amdhsa_next_free_sgpr 5
		.amdhsa_accum_offset 4
		.amdhsa_reserve_vcc 1
		.amdhsa_float_round_mode_32 0
		.amdhsa_float_round_mode_16_64 0
		.amdhsa_float_denorm_mode_32 3
		.amdhsa_float_denorm_mode_16_64 3
		.amdhsa_dx10_clamp 1
		.amdhsa_ieee_mode 1
		.amdhsa_fp16_overflow 0
		.amdhsa_tg_split 0
		.amdhsa_exception_fp_ieee_invalid_op 0
		.amdhsa_exception_fp_denorm_src 0
		.amdhsa_exception_fp_ieee_div_zero 0
		.amdhsa_exception_fp_ieee_overflow 0
		.amdhsa_exception_fp_ieee_underflow 0
		.amdhsa_exception_fp_ieee_inexact 0
		.amdhsa_exception_int_div_zero 0
	.end_amdhsa_kernel
	.section	.text._Z13fp32_cvt_e5m2IhfEvPT_PKT0_i,"axG",@progbits,_Z13fp32_cvt_e5m2IhfEvPT_PKT0_i,comdat
.Lfunc_end3:
	.size	_Z13fp32_cvt_e5m2IhfEvPT_PKT0_i, .Lfunc_end3-_Z13fp32_cvt_e5m2IhfEvPT_PKT0_i
                                        ; -- End function
	.set _Z13fp32_cvt_e5m2IhfEvPT_PKT0_i.num_vgpr, 1
	.set _Z13fp32_cvt_e5m2IhfEvPT_PKT0_i.num_agpr, 0
	.set _Z13fp32_cvt_e5m2IhfEvPT_PKT0_i.numbered_sgpr, 5
	.set _Z13fp32_cvt_e5m2IhfEvPT_PKT0_i.num_named_barrier, 0
	.set _Z13fp32_cvt_e5m2IhfEvPT_PKT0_i.private_seg_size, 0
	.set _Z13fp32_cvt_e5m2IhfEvPT_PKT0_i.uses_vcc, 1
	.set _Z13fp32_cvt_e5m2IhfEvPT_PKT0_i.uses_flat_scratch, 0
	.set _Z13fp32_cvt_e5m2IhfEvPT_PKT0_i.has_dyn_sized_stack, 0
	.set _Z13fp32_cvt_e5m2IhfEvPT_PKT0_i.has_recursion, 0
	.set _Z13fp32_cvt_e5m2IhfEvPT_PKT0_i.has_indirect_call, 0
	.section	.AMDGPU.csdata,"",@progbits
; Kernel info:
; codeLenInByte = 60
; TotalNumSgprs: 11
; NumVgprs: 1
; NumAgprs: 0
; TotalNumVgprs: 1
; ScratchSize: 0
; MemoryBound: 0
; FloatMode: 240
; IeeeMode: 1
; LDSByteSize: 0 bytes/workgroup (compile time only)
; SGPRBlocks: 1
; VGPRBlocks: 0
; NumSGPRsForWavesPerEU: 11
; NumVGPRsForWavesPerEU: 1
; AccumOffset: 4
; Occupancy: 8
; WaveLimiterHint : 0
; COMPUTE_PGM_RSRC2:SCRATCH_EN: 0
; COMPUTE_PGM_RSRC2:USER_SGPR: 2
; COMPUTE_PGM_RSRC2:TRAP_HANDLER: 0
; COMPUTE_PGM_RSRC2:TGID_X_EN: 1
; COMPUTE_PGM_RSRC2:TGID_Y_EN: 0
; COMPUTE_PGM_RSRC2:TGID_Z_EN: 0
; COMPUTE_PGM_RSRC2:TIDIG_COMP_CNT: 0
; COMPUTE_PGM_RSRC3_GFX90A:ACCUM_OFFSET: 0
; COMPUTE_PGM_RSRC3_GFX90A:TG_SPLIT: 0
	.section	.AMDGPU.gpr_maximums,"",@progbits
	.set amdgpu.max_num_vgpr, 0
	.set amdgpu.max_num_agpr, 0
	.set amdgpu.max_num_sgpr, 0
	.section	.AMDGPU.csdata,"",@progbits
	.type	__hip_cuid_8d1be8afa790f01,@object ; @__hip_cuid_8d1be8afa790f01
	.section	.bss,"aw",@nobits
	.globl	__hip_cuid_8d1be8afa790f01
__hip_cuid_8d1be8afa790f01:
	.byte	0                               ; 0x0
	.size	__hip_cuid_8d1be8afa790f01, 1

	.ident	"AMD clang version 22.0.0git (https://github.com/RadeonOpenCompute/llvm-project roc-7.2.4 26084 f58b06dce1f9c15707c5f808fd002e18c2accf7e)"
	.section	".note.GNU-stack","",@progbits
	.addrsig
	.addrsig_sym __hip_cuid_8d1be8afa790f01
	.amdgpu_metadata
---
amdhsa.kernels:
  - .agpr_count:     0
    .args:
      - .actual_access:  write_only
        .address_space:  global
        .offset:         0
        .size:           8
        .value_kind:     global_buffer
      - .actual_access:  read_only
        .address_space:  global
        .offset:         8
        .size:           8
        .value_kind:     global_buffer
      - .offset:         16
        .size:           4
        .value_kind:     by_value
      - .offset:         24
        .size:           4
        .value_kind:     hidden_block_count_x
      - .offset:         28
        .size:           4
        .value_kind:     hidden_block_count_y
      - .offset:         32
        .size:           4
        .value_kind:     hidden_block_count_z
      - .offset:         36
        .size:           2
        .value_kind:     hidden_group_size_x
      - .offset:         38
        .size:           2
        .value_kind:     hidden_group_size_y
      - .offset:         40
        .size:           2
        .value_kind:     hidden_group_size_z
      - .offset:         42
        .size:           2
        .value_kind:     hidden_remainder_x
      - .offset:         44
        .size:           2
        .value_kind:     hidden_remainder_y
      - .offset:         46
        .size:           2
        .value_kind:     hidden_remainder_z
      - .offset:         64
        .size:           8
        .value_kind:     hidden_global_offset_x
      - .offset:         72
        .size:           8
        .value_kind:     hidden_global_offset_y
      - .offset:         80
        .size:           8
        .value_kind:     hidden_global_offset_z
      - .offset:         88
        .size:           2
        .value_kind:     hidden_grid_dims
    .group_segment_fixed_size: 0
    .kernarg_segment_align: 8
    .kernarg_segment_size: 280
    .language:       OpenCL C
    .language_version:
      - 2
      - 0
    .max_flat_workgroup_size: 1024
    .name:           _Z21ref_fp32_cvt_e4m3fnuzIhfEvPT_PKT0_i
    .private_segment_fixed_size: 0
    .sgpr_count:     16
    .sgpr_spill_count: 0
    .symbol:         _Z21ref_fp32_cvt_e4m3fnuzIhfEvPT_PKT0_i.kd
    .uniform_work_group_size: 1
    .uses_dynamic_stack: false
    .vgpr_count:     5
    .vgpr_spill_count: 0
    .wavefront_size: 64
  - .agpr_count:     0
    .args:
      - .actual_access:  read_only
        .address_space:  global
        .offset:         0
        .size:           8
        .value_kind:     global_buffer
      - .actual_access:  read_only
        .address_space:  global
        .offset:         8
        .size:           8
        .value_kind:     global_buffer
      - .offset:         16
        .size:           4
        .value_kind:     by_value
      - .offset:         24
        .size:           4
        .value_kind:     hidden_block_count_x
      - .offset:         28
        .size:           4
        .value_kind:     hidden_block_count_y
      - .offset:         32
        .size:           4
        .value_kind:     hidden_block_count_z
      - .offset:         36
        .size:           2
        .value_kind:     hidden_group_size_x
      - .offset:         38
        .size:           2
        .value_kind:     hidden_group_size_y
      - .offset:         40
        .size:           2
        .value_kind:     hidden_group_size_z
      - .offset:         42
        .size:           2
        .value_kind:     hidden_remainder_x
      - .offset:         44
        .size:           2
        .value_kind:     hidden_remainder_y
      - .offset:         46
        .size:           2
        .value_kind:     hidden_remainder_z
      - .offset:         64
        .size:           8
        .value_kind:     hidden_global_offset_x
      - .offset:         72
        .size:           8
        .value_kind:     hidden_global_offset_y
      - .offset:         80
        .size:           8
        .value_kind:     hidden_global_offset_z
      - .offset:         88
        .size:           2
        .value_kind:     hidden_grid_dims
    .group_segment_fixed_size: 0
    .kernarg_segment_align: 8
    .kernarg_segment_size: 280
    .language:       OpenCL C
    .language_version:
      - 2
      - 0
    .max_flat_workgroup_size: 1024
    .name:           _Z13fp32_cvt_e4m3IhfEvPT_PKT0_i
    .private_segment_fixed_size: 0
    .sgpr_count:     11
    .sgpr_spill_count: 0
    .symbol:         _Z13fp32_cvt_e4m3IhfEvPT_PKT0_i.kd
    .uniform_work_group_size: 1
    .uses_dynamic_stack: false
    .vgpr_count:     1
    .vgpr_spill_count: 0
    .wavefront_size: 64
  - .agpr_count:     0
    .args:
      - .actual_access:  write_only
        .address_space:  global
        .offset:         0
        .size:           8
        .value_kind:     global_buffer
      - .actual_access:  read_only
        .address_space:  global
        .offset:         8
        .size:           8
        .value_kind:     global_buffer
      - .offset:         16
        .size:           4
        .value_kind:     by_value
      - .offset:         24
        .size:           4
        .value_kind:     hidden_block_count_x
      - .offset:         28
        .size:           4
        .value_kind:     hidden_block_count_y
      - .offset:         32
        .size:           4
        .value_kind:     hidden_block_count_z
      - .offset:         36
        .size:           2
        .value_kind:     hidden_group_size_x
      - .offset:         38
        .size:           2
        .value_kind:     hidden_group_size_y
      - .offset:         40
        .size:           2
        .value_kind:     hidden_group_size_z
      - .offset:         42
        .size:           2
        .value_kind:     hidden_remainder_x
      - .offset:         44
        .size:           2
        .value_kind:     hidden_remainder_y
      - .offset:         46
        .size:           2
        .value_kind:     hidden_remainder_z
      - .offset:         64
        .size:           8
        .value_kind:     hidden_global_offset_x
      - .offset:         72
        .size:           8
        .value_kind:     hidden_global_offset_y
      - .offset:         80
        .size:           8
        .value_kind:     hidden_global_offset_z
      - .offset:         88
        .size:           2
        .value_kind:     hidden_grid_dims
    .group_segment_fixed_size: 0
    .kernarg_segment_align: 8
    .kernarg_segment_size: 280
    .language:       OpenCL C
    .language_version:
      - 2
      - 0
    .max_flat_workgroup_size: 1024
    .name:           _Z21ref_fp32_cvt_e5m2fnuzIhfEvPT_PKT0_i
    .private_segment_fixed_size: 0
    .sgpr_count:     16
    .sgpr_spill_count: 0
    .symbol:         _Z21ref_fp32_cvt_e5m2fnuzIhfEvPT_PKT0_i.kd
    .uniform_work_group_size: 1
    .uses_dynamic_stack: false
    .vgpr_count:     5
    .vgpr_spill_count: 0
    .wavefront_size: 64
  - .agpr_count:     0
    .args:
      - .actual_access:  read_only
        .address_space:  global
        .offset:         0
        .size:           8
        .value_kind:     global_buffer
      - .actual_access:  read_only
        .address_space:  global
        .offset:         8
        .size:           8
        .value_kind:     global_buffer
      - .offset:         16
        .size:           4
        .value_kind:     by_value
      - .offset:         24
        .size:           4
        .value_kind:     hidden_block_count_x
      - .offset:         28
        .size:           4
        .value_kind:     hidden_block_count_y
      - .offset:         32
        .size:           4
        .value_kind:     hidden_block_count_z
      - .offset:         36
        .size:           2
        .value_kind:     hidden_group_size_x
      - .offset:         38
        .size:           2
        .value_kind:     hidden_group_size_y
      - .offset:         40
        .size:           2
        .value_kind:     hidden_group_size_z
      - .offset:         42
        .size:           2
        .value_kind:     hidden_remainder_x
      - .offset:         44
        .size:           2
        .value_kind:     hidden_remainder_y
      - .offset:         46
        .size:           2
        .value_kind:     hidden_remainder_z
      - .offset:         64
        .size:           8
        .value_kind:     hidden_global_offset_x
      - .offset:         72
        .size:           8
        .value_kind:     hidden_global_offset_y
      - .offset:         80
        .size:           8
        .value_kind:     hidden_global_offset_z
      - .offset:         88
        .size:           2
        .value_kind:     hidden_grid_dims
    .group_segment_fixed_size: 0
    .kernarg_segment_align: 8
    .kernarg_segment_size: 280
    .language:       OpenCL C
    .language_version:
      - 2
      - 0
    .max_flat_workgroup_size: 1024
    .name:           _Z13fp32_cvt_e5m2IhfEvPT_PKT0_i
    .private_segment_fixed_size: 0
    .sgpr_count:     11
    .sgpr_spill_count: 0
    .symbol:         _Z13fp32_cvt_e5m2IhfEvPT_PKT0_i.kd
    .uniform_work_group_size: 1
    .uses_dynamic_stack: false
    .vgpr_count:     1
    .vgpr_spill_count: 0
    .wavefront_size: 64
amdhsa.target:   amdgcn-amd-amdhsa--gfx950
amdhsa.version:
  - 1
  - 2
...

	.end_amdgpu_metadata
